;; amdgpu-corpus repo=ROCm/rocFFT kind=compiled arch=gfx906 opt=O3
	.text
	.amdgcn_target "amdgcn-amd-amdhsa--gfx906"
	.amdhsa_code_object_version 6
	.protected	bluestein_single_fwd_len490_dim1_dp_op_CI_CI ; -- Begin function bluestein_single_fwd_len490_dim1_dp_op_CI_CI
	.globl	bluestein_single_fwd_len490_dim1_dp_op_CI_CI
	.p2align	8
	.type	bluestein_single_fwd_len490_dim1_dp_op_CI_CI,@function
bluestein_single_fwd_len490_dim1_dp_op_CI_CI: ; @bluestein_single_fwd_len490_dim1_dp_op_CI_CI
; %bb.0:
	v_mul_u32_u24_e32 v1, 0x3a9, v0
	s_load_dwordx4 s[0:3], s[4:5], 0x28
	v_lshrrev_b32_e32 v1, 16, v1
	v_mad_u64_u32 v[88:89], s[6:7], s6, 3, v[1:2]
	v_mov_b32_e32 v89, 0
	s_waitcnt lgkmcnt(0)
	v_cmp_gt_u64_e32 vcc, s[0:1], v[88:89]
	s_and_saveexec_b64 s[0:1], vcc
	s_cbranch_execz .LBB0_15
; %bb.1:
	s_mov_b32 s0, 0xaaaaaaab
	v_mul_hi_u32 v2, v88, s0
	v_mul_lo_u16_e32 v1, 0x46, v1
	s_load_dwordx2 s[14:15], s[4:5], 0x0
	s_load_dwordx2 s[12:13], s[4:5], 0x38
	v_sub_u16_e32 v109, v0, v1
	v_lshrrev_b32_e32 v0, 1, v2
	v_lshl_add_u32 v0, v0, 1, v0
	v_sub_u32_e32 v0, v88, v0
	v_mul_u32_u24_e32 v113, 0x1ea, v0
	v_cmp_gt_u16_e64 s[0:1], 49, v109
	v_lshlrev_b32_e32 v110, 4, v109
	v_lshlrev_b32_e32 v111, 4, v113
	s_and_saveexec_b64 s[6:7], s[0:1]
	s_cbranch_execz .LBB0_3
; %bb.2:
	s_load_dwordx2 s[8:9], s[4:5], 0x18
	v_lshl_add_u32 v84, v109, 4, v111
	v_add_u32_e32 v85, v111, v110
	s_waitcnt lgkmcnt(0)
	s_load_dwordx4 s[8:11], s[8:9], 0x0
	s_waitcnt lgkmcnt(0)
	v_mad_u64_u32 v[0:1], s[16:17], s10, v88, 0
	v_mad_u64_u32 v[2:3], s[16:17], s8, v109, 0
	;; [unrolled: 1-line block ×4, first 2 shown]
	v_mov_b32_e32 v1, v4
	v_lshlrev_b64 v[0:1], 4, v[0:1]
	v_mov_b32_e32 v3, v5
	v_mov_b32_e32 v6, s3
	v_lshlrev_b64 v[2:3], 4, v[2:3]
	v_add_co_u32_e32 v0, vcc, s2, v0
	v_addc_co_u32_e32 v1, vcc, v6, v1, vcc
	v_add_co_u32_e32 v16, vcc, v0, v2
	v_addc_co_u32_e32 v17, vcc, v1, v3, vcc
	v_mov_b32_e32 v0, s15
	v_add_co_u32_e32 v54, vcc, s14, v110
	s_mul_i32 s2, s9, 0x310
	s_mul_hi_u32 s3, s8, 0x310
	v_addc_co_u32_e32 v55, vcc, 0, v0, vcc
	s_add_i32 s2, s3, s2
	s_mul_i32 s3, s8, 0x310
	v_mov_b32_e32 v0, s2
	v_add_co_u32_e32 v18, vcc, s3, v16
	v_addc_co_u32_e32 v19, vcc, v17, v0, vcc
	global_load_dwordx4 v[0:3], v[16:17], off
	global_load_dwordx4 v[4:7], v[18:19], off
	global_load_dwordx4 v[8:11], v110, s[14:15]
	global_load_dwordx4 v[12:15], v110, s[14:15] offset:784
	v_mov_b32_e32 v16, s2
	v_add_co_u32_e32 v32, vcc, s3, v18
	v_addc_co_u32_e32 v33, vcc, v19, v16, vcc
	v_add_co_u32_e32 v34, vcc, s3, v32
	v_addc_co_u32_e32 v35, vcc, v33, v16, vcc
	global_load_dwordx4 v[16:19], v[32:33], off
	global_load_dwordx4 v[20:23], v[34:35], off
	global_load_dwordx4 v[24:27], v110, s[14:15] offset:1568
	global_load_dwordx4 v[28:31], v110, s[14:15] offset:2352
	v_mov_b32_e32 v32, s2
	v_add_co_u32_e32 v36, vcc, s3, v34
	v_addc_co_u32_e32 v37, vcc, v35, v32, vcc
	v_mov_b32_e32 v38, s2
	v_add_co_u32_e32 v48, vcc, s3, v36
	v_addc_co_u32_e32 v49, vcc, v37, v38, vcc
	global_load_dwordx4 v[32:35], v[36:37], off
	v_mov_b32_e32 v50, s2
	v_add_co_u32_e32 v52, vcc, s3, v48
	global_load_dwordx4 v[36:39], v[48:49], off
	global_load_dwordx4 v[40:43], v110, s[14:15] offset:3136
	global_load_dwordx4 v[44:47], v110, s[14:15] offset:3920
	v_addc_co_u32_e32 v53, vcc, v49, v50, vcc
	s_movk_i32 s8, 0x1000
	v_add_co_u32_e32 v80, vcc, s8, v54
	v_addc_co_u32_e32 v81, vcc, 0, v55, vcc
	v_mov_b32_e32 v54, s2
	v_add_co_u32_e32 v64, vcc, s3, v52
	v_addc_co_u32_e32 v65, vcc, v53, v54, vcc
	global_load_dwordx4 v[48:51], v[52:53], off
	v_mov_b32_e32 v66, s2
	v_add_co_u32_e32 v68, vcc, s3, v64
	global_load_dwordx4 v[52:55], v[64:65], off
	global_load_dwordx4 v[56:59], v[80:81], off offset:608
	global_load_dwordx4 v[60:63], v[80:81], off offset:1392
	v_addc_co_u32_e32 v69, vcc, v65, v66, vcc
	global_load_dwordx4 v[64:67], v[68:69], off
	v_mov_b32_e32 v70, s2
	v_add_co_u32_e32 v82, vcc, s3, v68
	v_addc_co_u32_e32 v83, vcc, v69, v70, vcc
	global_load_dwordx4 v[68:71], v[80:81], off offset:2176
	global_load_dwordx4 v[72:75], v[80:81], off offset:2960
	global_load_dwordx4 v[76:79], v[82:83], off
	s_waitcnt vmcnt(17)
	v_mul_f64 v[80:81], v[2:3], v[10:11]
	v_mul_f64 v[10:11], v[0:1], v[10:11]
	s_waitcnt vmcnt(16)
	v_mul_f64 v[82:83], v[6:7], v[14:15]
	v_mul_f64 v[14:15], v[4:5], v[14:15]
	v_fma_f64 v[0:1], v[0:1], v[8:9], v[80:81]
	v_fma_f64 v[2:3], v[2:3], v[8:9], -v[10:11]
	s_waitcnt vmcnt(13)
	v_mul_f64 v[8:9], v[18:19], v[26:27]
	v_mul_f64 v[10:11], v[16:17], v[26:27]
	v_fma_f64 v[4:5], v[4:5], v[12:13], v[82:83]
	v_fma_f64 v[6:7], v[6:7], v[12:13], -v[14:15]
	s_waitcnt vmcnt(12)
	v_mul_f64 v[12:13], v[22:23], v[30:31]
	v_mul_f64 v[14:15], v[20:21], v[30:31]
	ds_write_b128 v84, v[0:3]
	ds_write_b128 v85, v[4:7] offset:784
	v_fma_f64 v[0:1], v[16:17], v[24:25], v[8:9]
	v_fma_f64 v[2:3], v[18:19], v[24:25], -v[10:11]
	v_fma_f64 v[4:5], v[20:21], v[28:29], v[12:13]
	v_fma_f64 v[6:7], v[22:23], v[28:29], -v[14:15]
	s_waitcnt vmcnt(9)
	v_mul_f64 v[26:27], v[34:35], v[42:43]
	v_mul_f64 v[30:31], v[32:33], v[42:43]
	s_waitcnt vmcnt(8)
	v_mul_f64 v[42:43], v[38:39], v[46:47]
	v_mul_f64 v[46:47], v[36:37], v[46:47]
	v_fma_f64 v[8:9], v[32:33], v[40:41], v[26:27]
	v_fma_f64 v[10:11], v[34:35], v[40:41], -v[30:31]
	v_fma_f64 v[12:13], v[36:37], v[44:45], v[42:43]
	v_fma_f64 v[14:15], v[38:39], v[44:45], -v[46:47]
	s_waitcnt vmcnt(5)
	v_mul_f64 v[16:17], v[50:51], v[58:59]
	v_mul_f64 v[18:19], v[48:49], v[58:59]
	s_waitcnt vmcnt(4)
	v_mul_f64 v[20:21], v[54:55], v[62:63]
	v_mul_f64 v[22:23], v[52:53], v[62:63]
	;; [unrolled: 3-line block ×4, first 2 shown]
	v_fma_f64 v[16:17], v[48:49], v[56:57], v[16:17]
	v_fma_f64 v[18:19], v[50:51], v[56:57], -v[18:19]
	v_fma_f64 v[20:21], v[52:53], v[60:61], v[20:21]
	v_fma_f64 v[22:23], v[54:55], v[60:61], -v[22:23]
	;; [unrolled: 2-line block ×4, first 2 shown]
	ds_write_b128 v85, v[0:3] offset:1568
	ds_write_b128 v85, v[4:7] offset:2352
	;; [unrolled: 1-line block ×8, first 2 shown]
.LBB0_3:
	s_or_b64 exec, exec, s[6:7]
	s_load_dwordx2 s[6:7], s[4:5], 0x20
	s_load_dwordx2 s[2:3], s[4:5], 0x8
	s_waitcnt lgkmcnt(0)
	s_barrier
	s_waitcnt lgkmcnt(0)
                                        ; implicit-def: $vgpr8_vgpr9
                                        ; implicit-def: $vgpr16_vgpr17
                                        ; implicit-def: $vgpr20_vgpr21
                                        ; implicit-def: $vgpr28_vgpr29
                                        ; implicit-def: $vgpr24_vgpr25
                                        ; implicit-def: $vgpr32_vgpr33
                                        ; implicit-def: $vgpr36_vgpr37
                                        ; implicit-def: $vgpr40_vgpr41
                                        ; implicit-def: $vgpr44_vgpr45
                                        ; implicit-def: $vgpr48_vgpr49
	s_and_saveexec_b64 s[4:5], s[0:1]
	s_cbranch_execz .LBB0_5
; %bb.4:
	v_lshl_add_u32 v0, v113, 4, v110
	ds_read_b128 v[8:11], v0
	ds_read_b128 v[16:19], v0 offset:784
	ds_read_b128 v[20:23], v0 offset:1568
	;; [unrolled: 1-line block ×9, first 2 shown]
.LBB0_5:
	s_or_b64 exec, exec, s[4:5]
	s_waitcnt lgkmcnt(3)
	v_add_f64 v[0:1], v[24:25], v[36:37]
	s_waitcnt lgkmcnt(1)
	v_add_f64 v[2:3], v[20:21], v[44:45]
	v_add_f64 v[62:63], v[22:23], -v[46:47]
	v_add_f64 v[64:65], v[26:27], -v[38:39]
	;; [unrolled: 1-line block ×4, first 2 shown]
	s_mov_b32 s10, 0x134454ff
	s_mov_b32 s11, 0x3fee6f0e
	v_fma_f64 v[58:59], v[0:1], -0.5, v[8:9]
	v_add_f64 v[0:1], v[26:27], v[38:39]
	v_fma_f64 v[2:3], v[2:3], -0.5, v[8:9]
	s_mov_b32 s9, 0xbfee6f0e
	s_mov_b32 s8, s10
	v_add_f64 v[68:69], v[4:5], v[6:7]
	v_add_f64 v[70:71], v[20:21], -v[44:45]
	v_add_f64 v[12:13], v[24:25], -v[20:21]
	v_fma_f64 v[4:5], v[62:63], s[8:9], v[58:59]
	v_fma_f64 v[60:61], v[0:1], -0.5, v[10:11]
	v_add_f64 v[0:1], v[22:23], v[46:47]
	v_fma_f64 v[6:7], v[64:65], s[8:9], v[2:3]
	v_add_f64 v[14:15], v[36:37], -v[44:45]
	v_fma_f64 v[2:3], v[64:65], s[10:11], v[2:3]
	v_add_f64 v[74:75], v[24:25], -v[36:37]
	s_mov_b32 s4, 0x4755a5e
	s_mov_b32 s5, 0x3fe2cf23
	;; [unrolled: 1-line block ×3, first 2 shown]
	v_fma_f64 v[0:1], v[0:1], -0.5, v[10:11]
	s_mov_b32 s18, s4
	v_add_f64 v[52:53], v[22:23], -v[26:27]
	v_add_f64 v[54:55], v[46:47], -v[38:39]
	v_fma_f64 v[56:57], v[70:71], s[10:11], v[60:61]
	v_fma_f64 v[4:5], v[64:65], s[18:19], v[4:5]
	;; [unrolled: 1-line block ×3, first 2 shown]
	v_add_f64 v[12:13], v[12:13], v[14:15]
	v_fma_f64 v[2:3], v[62:63], s[18:19], v[2:3]
	v_fma_f64 v[76:77], v[74:75], s[10:11], v[0:1]
	s_mov_b32 s16, 0x372fe950
	s_mov_b32 s17, 0x3fd3c6ef
	v_add_f64 v[72:73], v[52:53], v[54:55]
	v_fma_f64 v[14:15], v[74:75], s[4:5], v[56:57]
	v_fma_f64 v[52:53], v[68:69], s[16:17], v[4:5]
	;; [unrolled: 1-line block ×4, first 2 shown]
	v_add_f64 v[2:3], v[32:33], v[40:41]
	v_fma_f64 v[4:5], v[70:71], s[18:19], v[76:77]
	s_waitcnt lgkmcnt(0)
	v_add_f64 v[12:13], v[28:29], v[48:49]
	v_add_f64 v[76:77], v[30:31], v[50:51]
	;; [unrolled: 1-line block ×3, first 2 shown]
	v_add_f64 v[99:100], v[30:31], -v[50:51]
	v_add_f64 v[97:98], v[34:35], -v[42:43]
	;; [unrolled: 1-line block ×3, first 2 shown]
	v_fma_f64 v[93:94], v[2:3], -0.5, v[16:17]
	v_add_f64 v[84:85], v[32:33], -v[28:29]
	v_fma_f64 v[12:13], v[12:13], -0.5, v[16:17]
	v_fma_f64 v[76:77], v[76:77], -0.5, v[18:19]
	v_add_f64 v[86:87], v[40:41], -v[48:49]
	v_fma_f64 v[91:92], v[78:79], -0.5, v[18:19]
	v_add_f64 v[103:104], v[28:29], -v[48:49]
	v_add_f64 v[2:3], v[28:29], -v[32:33]
	v_add_f64 v[80:81], v[48:49], -v[40:41]
	v_fma_f64 v[82:83], v[99:100], s[8:9], v[93:94]
	v_fma_f64 v[89:90], v[97:98], s[8:9], v[12:13]
	;; [unrolled: 1-line block ×3, first 2 shown]
	v_add_f64 v[101:102], v[34:35], -v[30:31]
	v_add_f64 v[105:106], v[42:43], -v[50:51]
	v_fma_f64 v[12:13], v[97:98], s[10:11], v[12:13]
	v_add_f64 v[84:85], v[84:85], v[86:87]
	v_add_f64 v[86:87], v[30:31], -v[34:35]
	v_add_f64 v[107:108], v[50:51], -v[42:43]
	v_fma_f64 v[114:115], v[103:104], s[10:11], v[91:92]
	v_fma_f64 v[76:77], v[95:96], s[8:9], v[76:77]
	;; [unrolled: 1-line block ×3, first 2 shown]
	v_add_f64 v[6:7], v[26:27], -v[22:23]
	v_add_f64 v[14:15], v[38:39], -v[46:47]
	v_fma_f64 v[78:79], v[103:104], s[18:19], v[78:79]
	v_add_f64 v[101:102], v[101:102], v[105:106]
	v_fma_f64 v[12:13], v[99:100], s[18:19], v[12:13]
	v_add_f64 v[105:106], v[2:3], v[80:81]
	v_fma_f64 v[2:3], v[97:98], s[18:19], v[82:83]
	v_fma_f64 v[80:81], v[99:100], s[4:5], v[89:90]
	v_add_f64 v[107:108], v[86:87], v[107:108]
	v_fma_f64 v[76:77], v[103:104], s[4:5], v[76:77]
	v_fma_f64 v[82:83], v[95:96], s[4:5], v[114:115]
	;; [unrolled: 1-line block ×5, first 2 shown]
	v_add_f64 v[6:7], v[6:7], v[14:15]
	v_fma_f64 v[2:3], v[105:106], s[16:17], v[2:3]
	v_fma_f64 v[14:15], v[84:85], s[16:17], v[80:81]
	;; [unrolled: 1-line block ×4, first 2 shown]
	s_mov_b32 s20, 0x9b97f4a8
	s_mov_b32 s21, 0x3fe9e377
	v_fma_f64 v[0:1], v[70:71], s[4:5], v[0:1]
	v_mul_f64 v[76:77], v[86:87], s[10:11]
	v_mul_f64 v[89:90], v[12:13], s[16:17]
	;; [unrolled: 1-line block ×6, first 2 shown]
	v_fma_f64 v[82:83], v[6:7], s[16:17], v[4:5]
	v_fma_f64 v[84:85], v[6:7], s[16:17], v[0:1]
	;; [unrolled: 1-line block ×3, first 2 shown]
	v_fma_f64 v[78:79], v[78:79], s[10:11], -v[89:90]
	v_fma_f64 v[80:81], v[80:81], s[4:5], -v[101:102]
	v_fma_f64 v[86:87], v[86:87], s[16:17], v[114:115]
	v_fma_f64 v[89:90], v[12:13], s[8:9], -v[116:117]
	v_fma_f64 v[101:102], v[2:3], s[18:19], -v[118:119]
	v_mul_lo_u16_e32 v112, 10, v109
	v_add_f64 v[0:1], v[54:55], -v[76:77]
	v_add_f64 v[4:5], v[56:57], -v[78:79]
	;; [unrolled: 1-line block ×6, first 2 shown]
	s_barrier
	s_and_saveexec_b64 s[8:9], s[0:1]
	s_cbranch_execz .LBB0_7
; %bb.6:
	v_mul_f64 v[99:100], v[99:100], s[10:11]
	v_mul_f64 v[97:98], v[97:98], s[4:5]
	;; [unrolled: 1-line block ×3, first 2 shown]
	v_add_f64 v[22:23], v[10:11], v[22:23]
	v_add_f64 v[18:19], v[18:19], v[30:31]
	;; [unrolled: 1-line block ×4, first 2 shown]
	v_mul_f64 v[62:63], v[62:63], s[10:11]
	v_add_f64 v[93:94], v[93:94], v[99:100]
	v_mul_f64 v[70:71], v[70:71], s[10:11]
	v_mul_f64 v[99:100], v[105:106], s[16:17]
	;; [unrolled: 1-line block ×3, first 2 shown]
	v_add_f64 v[30:31], v[91:92], -v[103:104]
	v_add_f64 v[22:23], v[22:23], v[26:27]
	v_add_f64 v[18:19], v[18:19], v[34:35]
	v_add_f64 v[8:9], v[8:9], v[24:25]
	v_add_f64 v[91:92], v[97:98], v[93:94]
	v_add_f64 v[16:17], v[16:17], v[32:33]
	v_mul_f64 v[64:65], v[64:65], s[4:5]
	v_mul_f64 v[74:75], v[74:75], s[4:5]
	;; [unrolled: 1-line block ×3, first 2 shown]
	v_add_f64 v[20:21], v[60:61], -v[70:71]
	v_add_f64 v[26:27], v[30:31], -v[95:96]
	v_add_f64 v[30:31], v[58:59], v[62:63]
	v_add_f64 v[28:29], v[99:100], v[91:92]
	;; [unrolled: 1-line block ×6, first 2 shown]
	v_mul_f64 v[68:69], v[68:69], s[16:17]
	v_mul_f64 v[72:73], v[72:73], s[16:17]
	v_add_f64 v[20:21], v[20:21], -v[74:75]
	v_add_f64 v[24:25], v[105:106], v[26:27]
	v_mul_f64 v[26:27], v[28:29], s[4:5]
	v_add_f64 v[30:31], v[64:65], v[30:31]
	v_mul_f64 v[28:29], v[28:29], s[20:21]
	v_add_f64 v[32:33], v[22:23], v[46:47]
	v_add_f64 v[36:37], v[18:19], v[50:51]
	;; [unrolled: 1-line block ×5, first 2 shown]
	v_fma_f64 v[34:35], v[24:25], s[20:21], -v[26:27]
	v_add_f64 v[40:41], v[68:69], v[30:31]
	v_fma_f64 v[28:29], v[24:25], s[4:5], v[28:29]
	v_add_f64 v[22:23], v[82:83], v[86:87]
	v_add_f64 v[26:27], v[32:33], -v[36:37]
	v_add_f64 v[38:39], v[32:33], v[36:37]
	v_add_f64 v[36:37], v[42:43], v[44:45]
	;; [unrolled: 1-line block ×3, first 2 shown]
	v_add_f64 v[30:31], v[20:21], -v[34:35]
	v_add_f64 v[34:35], v[20:21], v[34:35]
	v_add_f64 v[32:33], v[40:41], v[28:29]
	;; [unrolled: 1-line block ×6, first 2 shown]
	v_add_f64 v[24:25], v[42:43], -v[44:45]
	v_add_f64 v[28:29], v[40:41], -v[28:29]
	v_add_lshl_u32 v40, v113, v112, 4
	ds_write_b128 v40, v[36:39]
	ds_write_b128 v40, v[32:35] offset:16
	ds_write_b128 v40, v[20:23] offset:32
	;; [unrolled: 1-line block ×9, first 2 shown]
.LBB0_7:
	s_or_b64 exec, exec, s[8:9]
	s_movk_i32 s8, 0xcd
	v_mul_lo_u16_sdwa v8, v109, s8 dst_sel:DWORD dst_unused:UNUSED_PAD src0_sel:BYTE_0 src1_sel:DWORD
	v_lshrrev_b16_e32 v64, 11, v8
	v_mul_lo_u16_e32 v8, 10, v64
	v_sub_u16_e32 v65, v109, v8
	v_mov_b32_e32 v8, 6
	v_mul_u32_u24_sdwa v8, v65, v8 dst_sel:DWORD dst_unused:UNUSED_PAD src0_sel:BYTE_0 src1_sel:DWORD
	v_lshlrev_b32_e32 v36, 4, v8
	s_load_dwordx4 s[4:7], s[6:7], 0x0
	s_waitcnt lgkmcnt(0)
	s_barrier
	global_load_dwordx4 v[24:27], v36, s[2:3]
	global_load_dwordx4 v[20:23], v36, s[2:3] offset:16
	global_load_dwordx4 v[16:19], v36, s[2:3] offset:32
	;; [unrolled: 1-line block ×5, first 2 shown]
	v_add_lshl_u32 v90, v113, v109, 4
	ds_read_b128 v[36:39], v90
	ds_read_b128 v[40:43], v90 offset:1120
	ds_read_b128 v[44:47], v90 offset:2240
	;; [unrolled: 1-line block ×6, first 2 shown]
	v_mul_u32_u24_e32 v64, 0x46, v64
	v_add_u32_sdwa v64, v64, v65 dst_sel:DWORD dst_unused:UNUSED_PAD src0_sel:DWORD src1_sel:BYTE_0
	v_add_lshl_u32 v91, v113, v64, 4
	s_mov_b32 s10, 0x37e14327
	s_mov_b32 s8, 0x36b3c0b5
	;; [unrolled: 1-line block ×20, first 2 shown]
	s_waitcnt vmcnt(0) lgkmcnt(0)
	s_barrier
	s_movk_i32 s33, 0x60
	v_lshl_add_u32 v89, v109, 4, v111
	v_mul_f64 v[64:65], v[42:43], v[26:27]
	v_mul_f64 v[66:67], v[40:41], v[26:27]
	;; [unrolled: 1-line block ×12, first 2 shown]
	v_fma_f64 v[40:41], v[40:41], v[24:25], -v[64:65]
	v_fma_f64 v[42:43], v[42:43], v[24:25], v[66:67]
	v_fma_f64 v[44:45], v[44:45], v[20:21], -v[68:69]
	v_fma_f64 v[46:47], v[46:47], v[20:21], v[70:71]
	;; [unrolled: 2-line block ×6, first 2 shown]
	v_add_f64 v[64:65], v[40:41], v[60:61]
	v_add_f64 v[66:67], v[42:43], v[62:63]
	v_add_f64 v[40:41], v[40:41], -v[60:61]
	v_add_f64 v[42:43], v[42:43], -v[62:63]
	v_add_f64 v[60:61], v[44:45], v[56:57]
	v_add_f64 v[62:63], v[46:47], v[58:59]
	v_add_f64 v[44:45], v[44:45], -v[56:57]
	v_add_f64 v[46:47], v[46:47], -v[58:59]
	v_add_f64 v[56:57], v[48:49], v[52:53]
	v_add_f64 v[58:59], v[50:51], v[54:55]
	v_add_f64 v[48:49], v[52:53], -v[48:49]
	v_add_f64 v[50:51], v[54:55], -v[50:51]
	v_add_f64 v[52:53], v[60:61], v[64:65]
	v_add_f64 v[54:55], v[62:63], v[66:67]
	v_add_f64 v[68:69], v[60:61], -v[64:65]
	v_add_f64 v[70:71], v[62:63], -v[66:67]
	v_add_f64 v[64:65], v[64:65], -v[56:57]
	v_add_f64 v[66:67], v[66:67], -v[58:59]
	;; [unrolled: 1-line block ×4, first 2 shown]
	v_add_f64 v[72:73], v[48:49], v[44:45]
	v_add_f64 v[74:75], v[50:51], v[46:47]
	v_add_f64 v[76:77], v[48:49], -v[44:45]
	v_add_f64 v[78:79], v[50:51], -v[46:47]
	v_add_f64 v[52:53], v[56:57], v[52:53]
	v_add_f64 v[54:55], v[58:59], v[54:55]
	v_add_f64 v[44:45], v[44:45], -v[40:41]
	v_add_f64 v[46:47], v[46:47], -v[42:43]
	;; [unrolled: 1-line block ×4, first 2 shown]
	v_add_f64 v[40:41], v[72:73], v[40:41]
	v_add_f64 v[42:43], v[74:75], v[42:43]
	v_mul_f64 v[56:57], v[64:65], s[10:11]
	v_mul_f64 v[58:59], v[66:67], s[10:11]
	;; [unrolled: 1-line block ×6, first 2 shown]
	v_add_f64 v[36:37], v[36:37], v[52:53]
	v_add_f64 v[38:39], v[38:39], v[54:55]
	v_mul_f64 v[76:77], v[44:45], s[16:17]
	v_mul_f64 v[78:79], v[46:47], s[16:17]
	v_fma_f64 v[60:61], v[60:61], s[8:9], v[56:57]
	v_fma_f64 v[62:63], v[62:63], s[8:9], v[58:59]
	v_fma_f64 v[64:65], v[68:69], s[22:23], -v[64:65]
	v_fma_f64 v[66:67], v[70:71], s[22:23], -v[66:67]
	;; [unrolled: 1-line block ×4, first 2 shown]
	v_fma_f64 v[68:69], v[48:49], s[26:27], v[72:73]
	v_fma_f64 v[70:71], v[50:51], s[26:27], v[74:75]
	;; [unrolled: 1-line block ×4, first 2 shown]
	v_fma_f64 v[48:49], v[48:49], s[30:31], -v[76:77]
	v_fma_f64 v[50:51], v[50:51], s[30:31], -v[78:79]
	;; [unrolled: 1-line block ×4, first 2 shown]
	v_fma_f64 v[68:69], v[40:41], s[28:29], v[68:69]
	v_fma_f64 v[70:71], v[42:43], s[28:29], v[70:71]
	v_add_f64 v[60:61], v[60:61], v[52:53]
	v_add_f64 v[62:63], v[62:63], v[54:55]
	v_fma_f64 v[76:77], v[40:41], s[28:29], v[48:49]
	v_fma_f64 v[78:79], v[42:43], s[28:29], v[50:51]
	v_add_f64 v[56:57], v[56:57], v[52:53]
	v_add_f64 v[58:59], v[58:59], v[54:55]
	;; [unrolled: 4-line block ×3, first 2 shown]
	v_add_f64 v[40:41], v[70:71], v[60:61]
	v_add_f64 v[42:43], v[62:63], -v[68:69]
	v_add_f64 v[44:45], v[78:79], v[56:57]
	v_add_f64 v[46:47], v[58:59], -v[76:77]
	v_add_f64 v[56:57], v[56:57], -v[78:79]
	v_add_f64 v[58:59], v[76:77], v[58:59]
	v_add_f64 v[48:49], v[52:53], -v[74:75]
	v_add_f64 v[50:51], v[72:73], v[54:55]
	v_add_f64 v[52:53], v[74:75], v[52:53]
	v_add_f64 v[54:55], v[54:55], -v[72:73]
	v_add_f64 v[60:61], v[60:61], -v[70:71]
	v_add_f64 v[62:63], v[68:69], v[62:63]
	ds_write_b128 v91, v[36:39]
	ds_write_b128 v91, v[40:43] offset:160
	ds_write_b128 v91, v[44:47] offset:320
	ds_write_b128 v91, v[48:51] offset:480
	ds_write_b128 v91, v[52:55] offset:640
	ds_write_b128 v91, v[56:59] offset:800
	ds_write_b128 v91, v[60:63] offset:960
	v_mov_b32_e32 v37, s3
	v_mov_b32_e32 v36, s2
	v_mad_u64_u32 v[60:61], s[2:3], v109, s33, v[36:37]
	s_waitcnt lgkmcnt(0)
	s_barrier
	global_load_dwordx4 v[48:51], v[60:61], off offset:960
	global_load_dwordx4 v[44:47], v[60:61], off offset:976
	;; [unrolled: 1-line block ×6, first 2 shown]
	ds_read_b128 v[60:63], v90
	ds_read_b128 v[64:67], v90 offset:1120
	ds_read_b128 v[68:71], v90 offset:2240
	;; [unrolled: 1-line block ×6, first 2 shown]
	s_waitcnt vmcnt(5) lgkmcnt(5)
	v_mul_f64 v[92:93], v[66:67], v[50:51]
	v_mul_f64 v[94:95], v[64:65], v[50:51]
	s_waitcnt vmcnt(4) lgkmcnt(4)
	v_mul_f64 v[96:97], v[70:71], v[46:47]
	v_mul_f64 v[98:99], v[68:69], v[46:47]
	;; [unrolled: 3-line block ×3, first 2 shown]
	s_waitcnt vmcnt(0)
	v_mul_f64 v[117:118], v[82:83], v[58:59]
	v_mul_f64 v[119:120], v[80:81], v[58:59]
	;; [unrolled: 1-line block ×6, first 2 shown]
	v_fma_f64 v[64:65], v[64:65], v[48:49], -v[92:93]
	v_fma_f64 v[66:67], v[66:67], v[48:49], v[94:95]
	v_fma_f64 v[68:69], v[68:69], v[44:45], -v[96:97]
	v_fma_f64 v[70:71], v[70:71], v[44:45], v[98:99]
	;; [unrolled: 2-line block ×6, first 2 shown]
	v_add_f64 v[92:93], v[64:65], v[84:85]
	v_add_f64 v[94:95], v[66:67], v[86:87]
	v_add_f64 v[64:65], v[64:65], -v[84:85]
	v_add_f64 v[66:67], v[66:67], -v[86:87]
	v_add_f64 v[84:85], v[68:69], v[80:81]
	v_add_f64 v[86:87], v[70:71], v[82:83]
	v_add_f64 v[68:69], v[68:69], -v[80:81]
	v_add_f64 v[70:71], v[70:71], -v[82:83]
	;; [unrolled: 4-line block ×4, first 2 shown]
	v_add_f64 v[92:93], v[92:93], -v[80:81]
	v_add_f64 v[94:95], v[94:95], -v[82:83]
	;; [unrolled: 1-line block ×4, first 2 shown]
	v_add_f64 v[100:101], v[72:73], v[68:69]
	v_add_f64 v[102:103], v[74:75], v[70:71]
	v_add_f64 v[104:105], v[72:73], -v[68:69]
	v_add_f64 v[106:107], v[74:75], -v[70:71]
	;; [unrolled: 1-line block ×4, first 2 shown]
	v_add_f64 v[76:77], v[80:81], v[76:77]
	v_add_f64 v[78:79], v[82:83], v[78:79]
	v_add_f64 v[72:73], v[64:65], -v[72:73]
	v_add_f64 v[74:75], v[66:67], -v[74:75]
	v_add_f64 v[64:65], v[100:101], v[64:65]
	v_add_f64 v[66:67], v[102:103], v[66:67]
	v_mul_f64 v[80:81], v[92:93], s[10:11]
	v_mul_f64 v[82:83], v[94:95], s[10:11]
	;; [unrolled: 1-line block ×8, first 2 shown]
	v_add_f64 v[60:61], v[60:61], v[76:77]
	v_add_f64 v[62:63], v[62:63], v[78:79]
	v_fma_f64 v[84:85], v[84:85], s[8:9], v[80:81]
	v_fma_f64 v[86:87], v[86:87], s[8:9], v[82:83]
	v_fma_f64 v[92:93], v[96:97], s[22:23], -v[92:93]
	v_fma_f64 v[94:95], v[98:99], s[22:23], -v[94:95]
	;; [unrolled: 1-line block ×4, first 2 shown]
	v_fma_f64 v[96:97], v[72:73], s[26:27], v[100:101]
	v_fma_f64 v[98:99], v[74:75], s[26:27], v[102:103]
	v_fma_f64 v[68:69], v[68:69], s[16:17], -v[100:101]
	v_fma_f64 v[70:71], v[70:71], s[16:17], -v[102:103]
	;; [unrolled: 1-line block ×4, first 2 shown]
	v_fma_f64 v[76:77], v[76:77], s[18:19], v[60:61]
	v_fma_f64 v[78:79], v[78:79], s[18:19], v[62:63]
	;; [unrolled: 1-line block ×8, first 2 shown]
	v_add_f64 v[84:85], v[84:85], v[76:77]
	v_add_f64 v[86:87], v[86:87], v[78:79]
	;; [unrolled: 1-line block ×7, first 2 shown]
	v_add_f64 v[66:67], v[86:87], -v[96:97]
	v_add_f64 v[68:69], v[106:107], v[80:81]
	v_add_f64 v[70:71], v[82:83], -v[104:105]
	v_add_f64 v[72:73], v[76:77], -v[102:103]
	v_add_f64 v[74:75], v[100:101], v[78:79]
	v_add_f64 v[76:77], v[102:103], v[76:77]
	v_add_f64 v[78:79], v[78:79], -v[100:101]
	v_add_f64 v[80:81], v[80:81], -v[106:107]
	v_add_f64 v[82:83], v[104:105], v[82:83]
	v_add_f64 v[84:85], v[84:85], -v[98:99]
	v_add_f64 v[86:87], v[96:97], v[86:87]
	ds_write_b128 v89, v[60:63]
	ds_write_b128 v89, v[64:67] offset:1120
	ds_write_b128 v89, v[68:71] offset:2240
	ds_write_b128 v89, v[72:75] offset:3360
	ds_write_b128 v89, v[76:79] offset:4480
	ds_write_b128 v89, v[80:83] offset:5600
	ds_write_b128 v89, v[84:87] offset:6720
	s_waitcnt lgkmcnt(0)
	s_barrier
	s_and_saveexec_b64 s[2:3], s[0:1]
	s_cbranch_execz .LBB0_9
; %bb.8:
	v_mov_b32_e32 v92, s15
	v_add_co_u32_e32 v108, vcc, s14, v110
	v_addc_co_u32_e32 v130, vcc, 0, v92, vcc
	v_add_co_u32_e32 v133, vcc, 0x1ea0, v108
	v_addc_co_u32_e32 v134, vcc, 0, v130, vcc
	s_movk_i32 s8, 0x3000
	v_add_co_u32_e32 v125, vcc, s8, v108
	global_load_dwordx4 v[92:95], v[133:134], off offset:784
	global_load_dwordx4 v[96:99], v[133:134], off offset:1568
	;; [unrolled: 1-line block ×4, first 2 shown]
	v_addc_co_u32_e32 v126, vcc, 0, v130, vcc
	global_load_dwordx4 v[113:116], v[125:126], off offset:256
	v_add_co_u32_e32 v129, vcc, 0x1000, v108
	global_load_dwordx4 v[117:120], v[125:126], off offset:1040
	global_load_dwordx4 v[121:124], v[125:126], off offset:1824
	s_nop 0
	global_load_dwordx4 v[125:128], v[125:126], off offset:2608
	v_addc_co_u32_e32 v130, vcc, 0, v130, vcc
	global_load_dwordx4 v[129:132], v[129:130], off offset:3744
	s_nop 0
	global_load_dwordx4 v[133:136], v[133:134], off offset:3920
	ds_read_b128 v[137:140], v89
	ds_read_b128 v[141:144], v89 offset:784
	ds_read_b128 v[145:148], v89 offset:1568
	;; [unrolled: 1-line block ×9, first 2 shown]
	s_waitcnt vmcnt(9) lgkmcnt(8)
	v_mul_f64 v[177:178], v[143:144], v[94:95]
	v_mul_f64 v[94:95], v[141:142], v[94:95]
	s_waitcnt vmcnt(8) lgkmcnt(7)
	v_mul_f64 v[179:180], v[147:148], v[98:99]
	v_mul_f64 v[98:99], v[145:146], v[98:99]
	;; [unrolled: 3-line block ×8, first 2 shown]
	s_waitcnt vmcnt(1)
	v_mul_f64 v[193:194], v[139:140], v[131:132]
	v_mul_f64 v[131:132], v[137:138], v[131:132]
	s_waitcnt vmcnt(0)
	v_mul_f64 v[195:196], v[159:160], v[135:136]
	v_mul_f64 v[135:136], v[157:158], v[135:136]
	v_fma_f64 v[141:142], v[141:142], v[92:93], -v[177:178]
	v_fma_f64 v[143:144], v[143:144], v[92:93], v[94:95]
	v_fma_f64 v[92:93], v[145:146], v[96:97], -v[179:180]
	v_fma_f64 v[94:95], v[147:148], v[96:97], v[98:99]
	;; [unrolled: 2-line block ×10, first 2 shown]
	ds_write_b128 v89, v[141:144] offset:784
	ds_write_b128 v89, v[92:95] offset:1568
	;; [unrolled: 1-line block ×7, first 2 shown]
	ds_write_b128 v89, v[125:128]
	ds_write_b128 v89, v[129:132] offset:3920
	ds_write_b128 v89, v[121:124] offset:7056
.LBB0_9:
	s_or_b64 exec, exec, s[2:3]
	s_waitcnt lgkmcnt(0)
	s_barrier
	s_and_saveexec_b64 s[2:3], s[0:1]
	s_cbranch_execz .LBB0_11
; %bb.10:
	ds_read_b128 v[60:63], v89
	ds_read_b128 v[64:67], v89 offset:784
	ds_read_b128 v[68:71], v89 offset:1568
	;; [unrolled: 1-line block ×9, first 2 shown]
.LBB0_11:
	s_or_b64 exec, exec, s[2:3]
	s_waitcnt lgkmcnt(0)
	s_barrier
	s_and_saveexec_b64 s[2:3], s[0:1]
	s_cbranch_execz .LBB0_13
; %bb.12:
	v_add_f64 v[100:101], v[82:83], v[2:3]
	v_add_f64 v[102:103], v[80:81], v[0:1]
	;; [unrolled: 1-line block ×3, first 2 shown]
	v_add_f64 v[113:114], v[72:73], -v[12:13]
	v_add_f64 v[117:118], v[74:75], -v[14:15]
	s_mov_b32 s8, 0x134454ff
	s_mov_b32 s9, 0xbfee6f0e
	s_mov_b32 s21, 0x3fee6f0e
	v_fma_f64 v[100:101], v[100:101], -0.5, v[66:67]
	v_fma_f64 v[102:103], v[102:103], -0.5, v[64:65]
	s_mov_b32 s20, s8
	v_add_f64 v[98:99], v[68:69], -v[4:5]
	v_fma_f64 v[92:93], v[92:93], -0.5, v[62:63]
	v_add_f64 v[106:107], v[72:73], -v[80:81]
	v_add_f64 v[115:116], v[12:13], -v[0:1]
	;; [unrolled: 1-line block ×4, first 2 shown]
	v_fma_f64 v[125:126], v[113:114], s[8:9], v[100:101]
	v_add_f64 v[127:128], v[80:81], -v[0:1]
	v_fma_f64 v[129:130], v[117:118], s[20:21], v[102:103]
	v_add_f64 v[131:132], v[82:83], -v[2:3]
	v_fma_f64 v[102:103], v[117:118], s[8:9], v[102:103]
	s_mov_b32 s10, 0x4755a5e
	s_mov_b32 s11, 0xbfe2cf23
	;; [unrolled: 1-line block ×4, first 2 shown]
	v_add_f64 v[94:95], v[70:71], -v[78:79]
	v_add_f64 v[96:97], v[6:7], -v[86:87]
	;; [unrolled: 1-line block ×3, first 2 shown]
	v_fma_f64 v[119:120], v[98:99], s[8:9], v[92:93]
	v_add_f64 v[106:107], v[106:107], v[115:116]
	v_add_f64 v[115:116], v[121:122], v[123:124]
	v_fma_f64 v[121:122], v[127:128], s[10:11], v[125:126]
	v_fma_f64 v[123:124], v[131:132], s[18:19], v[129:130]
	v_add_f64 v[125:126], v[74:75], v[14:15]
	v_add_f64 v[133:134], v[70:71], v[6:7]
	v_fma_f64 v[92:93], v[98:99], s[20:21], v[92:93]
	v_fma_f64 v[102:103], v[131:132], s[10:11], v[102:103]
	;; [unrolled: 1-line block ×3, first 2 shown]
	s_mov_b32 s16, 0x372fe950
	s_mov_b32 s17, 0x3fd3c6ef
	v_add_f64 v[96:97], v[94:95], v[96:97]
	v_fma_f64 v[94:95], v[104:105], s[10:11], v[119:120]
	v_fma_f64 v[119:120], v[106:107], s[16:17], v[123:124]
	v_add_f64 v[123:124], v[72:73], v[12:13]
	v_fma_f64 v[125:126], v[125:126], -0.5, v[66:67]
	v_fma_f64 v[133:134], v[133:134], -0.5, v[62:63]
	v_fma_f64 v[92:93], v[104:105], s[18:19], v[92:93]
	v_fma_f64 v[102:103], v[106:107], s[16:17], v[102:103]
	;; [unrolled: 1-line block ×3, first 2 shown]
	v_add_f64 v[106:107], v[76:77], v[84:85]
	v_add_f64 v[62:63], v[62:63], v[70:71]
	v_add_f64 v[66:67], v[66:67], v[74:75]
	v_fma_f64 v[121:122], v[115:116], s[16:17], v[121:122]
	v_fma_f64 v[123:124], v[123:124], -0.5, v[64:65]
	v_fma_f64 v[135:136], v[96:97], s[16:17], v[94:95]
	v_add_f64 v[141:142], v[82:83], -v[74:75]
	v_add_f64 v[143:144], v[2:3], -v[14:15]
	v_fma_f64 v[145:146], v[127:128], s[20:21], v[125:126]
	v_add_f64 v[147:148], v[78:79], -v[70:71]
	v_add_f64 v[149:150], v[86:87], -v[6:7]
	v_fma_f64 v[151:152], v[104:105], s[20:21], v[133:134]
	v_fma_f64 v[133:134], v[104:105], s[8:9], v[133:134]
	;; [unrolled: 1-line block ×3, first 2 shown]
	v_mul_f64 v[74:75], v[102:103], s[18:19]
	v_fma_f64 v[92:93], v[115:116], s[16:17], v[100:101]
	v_fma_f64 v[100:101], v[106:107], -0.5, v[60:61]
	v_add_f64 v[70:71], v[70:71], -v[6:7]
	v_add_f64 v[62:63], v[62:63], v[78:79]
	v_add_f64 v[82:83], v[66:67], v[82:83]
	;; [unrolled: 1-line block ×3, first 2 shown]
	s_mov_b32 s22, 0x9b97f4a8
	s_mov_b32 s23, 0xbfe9e377
	;; [unrolled: 1-line block ×4, first 2 shown]
	v_fma_f64 v[139:140], v[131:132], s[8:9], v[123:124]
	v_fma_f64 v[125:126], v[127:128], s[8:9], v[125:126]
	v_add_f64 v[141:142], v[141:142], v[143:144]
	v_fma_f64 v[143:144], v[113:114], s[10:11], v[145:146]
	v_add_f64 v[145:146], v[147:148], v[149:150]
	v_fma_f64 v[123:124], v[131:132], s[20:21], v[123:124]
	v_fma_f64 v[147:148], v[98:99], s[10:11], v[151:152]
	;; [unrolled: 1-line block ×3, first 2 shown]
	v_add_f64 v[106:107], v[68:69], -v[76:77]
	v_add_f64 v[127:128], v[4:5], -v[84:85]
	v_fma_f64 v[131:132], v[70:71], s[20:21], v[100:101]
	v_add_f64 v[78:79], v[78:79], -v[86:87]
	v_fma_f64 v[133:134], v[92:93], s[26:27], v[74:75]
	v_add_f64 v[74:75], v[62:63], v[86:87]
	v_fma_f64 v[86:87], v[115:116], -0.5, v[60:61]
	v_add_f64 v[82:83], v[82:83], v[2:3]
	v_add_f64 v[60:61], v[60:61], v[68:69]
	;; [unrolled: 1-line block ×4, first 2 shown]
	v_fma_f64 v[115:116], v[78:79], s[18:19], v[131:132]
	v_add_f64 v[94:95], v[80:81], -v[72:73]
	v_add_f64 v[127:128], v[74:75], v[6:7]
	v_add_f64 v[6:7], v[76:77], -v[68:69]
	v_add_f64 v[74:75], v[84:85], -v[4:5]
	v_fma_f64 v[131:132], v[78:79], s[8:9], v[86:87]
	v_add_f64 v[82:83], v[82:83], v[14:15]
	v_fma_f64 v[14:15], v[78:79], s[20:21], v[86:87]
	v_add_f64 v[137:138], v[0:1], -v[12:13]
	v_fma_f64 v[125:126], v[113:114], s[18:19], v[125:126]
	v_add_f64 v[60:61], v[60:61], v[76:77]
	v_add_f64 v[64:65], v[64:65], v[80:81]
	v_add_f64 v[6:7], v[6:7], v[74:75]
	v_fma_f64 v[72:73], v[70:71], s[18:19], v[131:132]
	v_fma_f64 v[139:140], v[117:118], s[18:19], v[139:140]
	;; [unrolled: 1-line block ×4, first 2 shown]
	v_add_f64 v[137:138], v[94:95], v[137:138]
	v_fma_f64 v[117:118], v[117:118], s[10:11], v[123:124]
	v_fma_f64 v[123:124], v[141:142], s[16:17], v[125:126]
	v_mul_f64 v[68:69], v[121:122], s[10:11]
	v_fma_f64 v[143:144], v[141:142], s[16:17], v[143:144]
	v_fma_f64 v[86:87], v[106:107], s[16:17], v[115:116]
	;; [unrolled: 1-line block ×5, first 2 shown]
	v_add_f64 v[70:71], v[60:61], v[84:85]
	v_add_f64 v[0:1], v[64:65], v[0:1]
	v_mul_f64 v[64:65], v[92:93], s[10:11]
	s_mov_b32 s25, 0xbfd3c6ef
	s_mov_b32 s24, s16
	v_fma_f64 v[113:114], v[137:138], s[16:17], v[117:118]
	v_mul_f64 v[117:118], v[123:124], s[16:17]
	v_fma_f64 v[100:101], v[119:120], s[22:23], v[68:69]
	v_mul_f64 v[68:69], v[123:124], s[8:9]
	v_mul_f64 v[129:130], v[121:122], s[22:23]
	v_fma_f64 v[139:140], v[137:138], s[16:17], v[139:140]
	v_mul_f64 v[125:126], v[143:144], s[24:25]
	v_mul_f64 v[74:75], v[143:144], s[8:9]
	v_add_f64 v[4:5], v[70:71], v[4:5]
	v_add_f64 v[0:1], v[0:1], v[12:13]
	v_fma_f64 v[84:85], v[106:107], s[16:17], v[14:15]
	v_fma_f64 v[102:103], v[102:103], s[26:27], v[64:65]
	;; [unrolled: 1-line block ×9, first 2 shown]
	v_add_f64 v[6:7], v[127:128], -v[82:83]
	v_add_f64 v[82:83], v[127:128], v[82:83]
	v_add_f64 v[80:81], v[4:5], v[0:1]
	;; [unrolled: 1-line block ×4, first 2 shown]
	v_add_f64 v[64:65], v[72:73], -v[68:69]
	v_add_f64 v[74:75], v[98:99], v[117:118]
	v_add_f64 v[72:73], v[72:73], v[68:69]
	;; [unrolled: 1-line block ×6, first 2 shown]
	v_add_f64 v[4:5], v[4:5], -v[0:1]
	v_add_f64 v[2:3], v[96:97], -v[133:134]
	;; [unrolled: 1-line block ×4, first 2 shown]
	v_lshl_add_u32 v84, v112, 4, v111
	v_add_f64 v[94:95], v[135:136], -v[129:130]
	v_add_f64 v[62:63], v[104:105], -v[125:126]
	;; [unrolled: 1-line block ×4, first 2 shown]
	ds_write_b128 v84, v[80:83]
	ds_write_b128 v84, v[76:79] offset:16
	ds_write_b128 v84, v[72:75] offset:32
	;; [unrolled: 1-line block ×9, first 2 shown]
.LBB0_13:
	s_or_b64 exec, exec, s[2:3]
	s_waitcnt lgkmcnt(0)
	s_barrier
	ds_read_b128 v[0:3], v90 offset:1120
	ds_read_b128 v[4:7], v90 offset:2240
	;; [unrolled: 1-line block ×3, first 2 shown]
	ds_read_b128 v[60:63], v90
	ds_read_b128 v[64:67], v90 offset:4480
	ds_read_b128 v[68:71], v90 offset:5600
	;; [unrolled: 1-line block ×3, first 2 shown]
	s_mov_b32 s8, 0x37e14327
	s_waitcnt lgkmcnt(6)
	v_mul_f64 v[76:77], v[26:27], v[2:3]
	v_mul_f64 v[26:27], v[26:27], v[0:1]
	s_waitcnt lgkmcnt(5)
	v_mul_f64 v[78:79], v[22:23], v[6:7]
	v_mul_f64 v[22:23], v[22:23], v[4:5]
	s_mov_b32 s2, 0x36b3c0b5
	s_mov_b32 s16, 0xe976ee23
	;; [unrolled: 1-line block ×4, first 2 shown]
	v_fma_f64 v[0:1], v[24:25], v[0:1], v[76:77]
	v_fma_f64 v[2:3], v[24:25], v[2:3], -v[26:27]
	v_fma_f64 v[4:5], v[20:21], v[4:5], v[78:79]
	v_fma_f64 v[6:7], v[20:21], v[6:7], -v[22:23]
	s_waitcnt lgkmcnt(0)
	v_mul_f64 v[20:21], v[30:31], v[74:75]
	v_mul_f64 v[22:23], v[30:31], v[72:73]
	;; [unrolled: 1-line block ×8, first 2 shown]
	v_fma_f64 v[20:21], v[28:29], v[72:73], v[20:21]
	v_fma_f64 v[22:23], v[28:29], v[74:75], -v[22:23]
	v_fma_f64 v[12:13], v[16:17], v[12:13], v[24:25]
	v_fma_f64 v[14:15], v[16:17], v[14:15], -v[18:19]
	;; [unrolled: 2-line block ×4, first 2 shown]
	v_add_f64 v[10:11], v[0:1], v[20:21]
	v_add_f64 v[26:27], v[2:3], v[22:23]
	v_add_f64 v[0:1], v[0:1], -v[20:21]
	v_add_f64 v[2:3], v[2:3], -v[22:23]
	v_add_f64 v[20:21], v[4:5], v[16:17]
	v_add_f64 v[22:23], v[6:7], v[18:19]
	v_add_f64 v[4:5], v[4:5], -v[16:17]
	v_add_f64 v[6:7], v[6:7], -v[18:19]
	;; [unrolled: 4-line block ×4, first 2 shown]
	v_add_f64 v[10:11], v[10:11], -v[16:17]
	v_add_f64 v[26:27], v[26:27], -v[18:19]
	;; [unrolled: 1-line block ×4, first 2 shown]
	v_add_f64 v[32:33], v[12:13], v[4:5]
	v_add_f64 v[34:35], v[8:9], v[6:7]
	v_add_f64 v[64:65], v[12:13], -v[4:5]
	v_add_f64 v[66:67], v[8:9], -v[6:7]
	v_add_f64 v[14:15], v[16:17], v[14:15]
	v_add_f64 v[16:17], v[18:19], v[24:25]
	v_add_f64 v[4:5], v[4:5], -v[0:1]
	v_add_f64 v[6:7], v[6:7], -v[2:3]
	s_mov_b32 s17, 0x3fe11646
	s_mov_b32 s10, 0x429ad128
	v_add_f64 v[12:13], v[0:1], -v[12:13]
	v_add_f64 v[8:9], v[2:3], -v[8:9]
	v_add_f64 v[18:19], v[32:33], v[0:1]
	v_add_f64 v[24:25], v[34:35], v[2:3]
	;; [unrolled: 1-line block ×4, first 2 shown]
	v_mul_f64 v[10:11], v[10:11], s[8:9]
	v_mul_f64 v[26:27], v[26:27], s[8:9]
	;; [unrolled: 1-line block ×6, first 2 shown]
	s_mov_b32 s11, 0xbfebfeb5
	v_mul_f64 v[64:65], v[4:5], s[10:11]
	v_mul_f64 v[66:67], v[6:7], s[10:11]
	s_mov_b32 s18, 0xaaaaaaaa
	s_mov_b32 s20, 0x5476071b
	;; [unrolled: 1-line block ×8, first 2 shown]
	v_fma_f64 v[14:15], v[14:15], s[18:19], v[0:1]
	v_fma_f64 v[16:17], v[16:17], s[18:19], v[2:3]
	;; [unrolled: 1-line block ×4, first 2 shown]
	v_fma_f64 v[32:33], v[28:29], s[20:21], -v[32:33]
	v_fma_f64 v[34:35], v[30:31], s[20:21], -v[34:35]
	;; [unrolled: 1-line block ×4, first 2 shown]
	v_fma_f64 v[28:29], v[12:13], s[24:25], v[60:61]
	v_fma_f64 v[30:31], v[8:9], s[24:25], v[62:63]
	s_mov_b32 s29, 0x3fd5d0dc
	s_mov_b32 s28, s24
	v_fma_f64 v[12:13], v[12:13], s[28:29], -v[64:65]
	v_fma_f64 v[8:9], v[8:9], s[28:29], -v[66:67]
	;; [unrolled: 1-line block ×4, first 2 shown]
	s_mov_b32 s26, 0x37c3f68c
	s_mov_b32 s27, 0xbfdc38aa
	v_add_f64 v[60:61], v[20:21], v[14:15]
	v_add_f64 v[62:63], v[22:23], v[16:17]
	v_fma_f64 v[30:31], v[24:25], s[26:27], v[30:31]
	v_fma_f64 v[28:29], v[18:19], s[26:27], v[28:29]
	v_add_f64 v[20:21], v[32:33], v[14:15]
	v_add_f64 v[22:23], v[34:35], v[16:17]
	v_add_f64 v[32:33], v[10:11], v[14:15]
	v_add_f64 v[26:27], v[26:27], v[16:17]
	v_fma_f64 v[34:35], v[24:25], s[26:27], v[8:9]
	v_fma_f64 v[64:65], v[18:19], s[26:27], v[12:13]
	;; [unrolled: 1-line block ×4, first 2 shown]
	v_add_f64 v[4:5], v[30:31], v[60:61]
	v_add_f64 v[6:7], v[62:63], -v[28:29]
	v_add_f64 v[24:25], v[60:61], -v[30:31]
	v_add_f64 v[8:9], v[34:35], v[32:33]
	v_add_f64 v[10:11], v[26:27], -v[64:65]
	v_add_f64 v[12:13], v[20:21], -v[16:17]
	v_add_f64 v[14:15], v[18:19], v[22:23]
	v_add_f64 v[16:17], v[16:17], v[20:21]
	v_add_f64 v[18:19], v[22:23], -v[18:19]
	v_add_f64 v[20:21], v[32:33], -v[34:35]
	v_add_f64 v[22:23], v[64:65], v[26:27]
	v_add_f64 v[26:27], v[28:29], v[62:63]
	s_barrier
	ds_write_b128 v91, v[0:3]
	ds_write_b128 v91, v[4:7] offset:160
	ds_write_b128 v91, v[8:11] offset:320
	;; [unrolled: 1-line block ×6, first 2 shown]
	s_waitcnt lgkmcnt(0)
	s_barrier
	ds_read_b128 v[0:3], v90 offset:1120
	ds_read_b128 v[4:7], v90 offset:2240
	;; [unrolled: 1-line block ×3, first 2 shown]
	ds_read_b128 v[12:15], v90
	ds_read_b128 v[16:19], v90 offset:4480
	ds_read_b128 v[20:23], v90 offset:5600
	;; [unrolled: 1-line block ×3, first 2 shown]
	s_waitcnt lgkmcnt(6)
	v_mul_f64 v[28:29], v[50:51], v[2:3]
	v_mul_f64 v[30:31], v[50:51], v[0:1]
	s_waitcnt lgkmcnt(5)
	v_mul_f64 v[32:33], v[46:47], v[6:7]
	v_mul_f64 v[34:35], v[46:47], v[4:5]
	;; [unrolled: 3-line block ×3, first 2 shown]
	v_fma_f64 v[0:1], v[48:49], v[0:1], v[28:29]
	v_fma_f64 v[2:3], v[48:49], v[2:3], -v[30:31]
	v_fma_f64 v[4:5], v[44:45], v[4:5], v[32:33]
	v_fma_f64 v[6:7], v[44:45], v[6:7], -v[34:35]
	s_waitcnt lgkmcnt(0)
	v_mul_f64 v[28:29], v[54:55], v[26:27]
	v_mul_f64 v[30:31], v[54:55], v[24:25]
	;; [unrolled: 1-line block ×6, first 2 shown]
	v_fma_f64 v[16:17], v[36:37], v[16:17], v[46:47]
	v_fma_f64 v[18:19], v[36:37], v[18:19], -v[38:39]
	v_fma_f64 v[24:25], v[52:53], v[24:25], v[28:29]
	v_fma_f64 v[26:27], v[52:53], v[26:27], -v[30:31]
	;; [unrolled: 2-line block ×4, first 2 shown]
	v_add_f64 v[28:29], v[0:1], v[24:25]
	v_add_f64 v[30:31], v[2:3], v[26:27]
	v_add_f64 v[0:1], v[0:1], -v[24:25]
	v_add_f64 v[2:3], v[2:3], -v[26:27]
	v_add_f64 v[24:25], v[4:5], v[20:21]
	v_add_f64 v[26:27], v[6:7], v[22:23]
	v_add_f64 v[4:5], v[4:5], -v[20:21]
	v_add_f64 v[6:7], v[6:7], -v[22:23]
	;; [unrolled: 4-line block ×4, first 2 shown]
	v_add_f64 v[28:29], v[28:29], -v[20:21]
	v_add_f64 v[30:31], v[30:31], -v[22:23]
	;; [unrolled: 1-line block ×4, first 2 shown]
	v_add_f64 v[36:37], v[8:9], v[4:5]
	v_add_f64 v[38:39], v[10:11], v[6:7]
	v_add_f64 v[40:41], v[8:9], -v[4:5]
	v_add_f64 v[42:43], v[10:11], -v[6:7]
	v_add_f64 v[16:17], v[20:21], v[16:17]
	v_add_f64 v[18:19], v[22:23], v[18:19]
	v_add_f64 v[4:5], v[4:5], -v[0:1]
	v_add_f64 v[6:7], v[6:7], -v[2:3]
	v_add_f64 v[8:9], v[0:1], -v[8:9]
	v_add_f64 v[10:11], v[2:3], -v[10:11]
	v_add_f64 v[20:21], v[36:37], v[0:1]
	v_add_f64 v[22:23], v[38:39], v[2:3]
	;; [unrolled: 1-line block ×4, first 2 shown]
	v_mul_f64 v[12:13], v[28:29], s[8:9]
	v_mul_f64 v[14:15], v[30:31], s[8:9]
	;; [unrolled: 1-line block ×8, first 2 shown]
	v_fma_f64 v[16:17], v[16:17], s[18:19], v[0:1]
	v_fma_f64 v[18:19], v[18:19], s[18:19], v[2:3]
	v_fma_f64 v[24:25], v[24:25], s[2:3], v[12:13]
	v_fma_f64 v[26:27], v[26:27], s[2:3], v[14:15]
	v_fma_f64 v[28:29], v[32:33], s[20:21], -v[28:29]
	v_fma_f64 v[30:31], v[34:35], s[20:21], -v[30:31]
	v_fma_f64 v[12:13], v[32:33], s[22:23], -v[12:13]
	v_fma_f64 v[14:15], v[34:35], s[22:23], -v[14:15]
	v_fma_f64 v[32:33], v[8:9], s[24:25], v[36:37]
	v_fma_f64 v[34:35], v[10:11], s[24:25], v[38:39]
	v_fma_f64 v[8:9], v[8:9], s[28:29], -v[40:41]
	v_fma_f64 v[10:11], v[10:11], s[28:29], -v[42:43]
	;; [unrolled: 1-line block ×4, first 2 shown]
	v_add_f64 v[24:25], v[24:25], v[16:17]
	v_add_f64 v[26:27], v[26:27], v[18:19]
	v_fma_f64 v[32:33], v[20:21], s[26:27], v[32:33]
	v_fma_f64 v[34:35], v[22:23], s[26:27], v[34:35]
	v_add_f64 v[36:37], v[12:13], v[16:17]
	v_add_f64 v[38:39], v[14:15], v[18:19]
	v_fma_f64 v[40:41], v[22:23], s[26:27], v[10:11]
	v_fma_f64 v[42:43], v[20:21], s[26:27], v[8:9]
	;; [unrolled: 4-line block ×3, first 2 shown]
	v_add_f64 v[4:5], v[34:35], v[24:25]
	v_add_f64 v[6:7], v[26:27], -v[32:33]
	v_add_f64 v[8:9], v[40:41], v[36:37]
	v_add_f64 v[10:11], v[38:39], -v[42:43]
	v_add_f64 v[20:21], v[36:37], -v[40:41]
	v_add_f64 v[22:23], v[42:43], v[38:39]
	v_add_f64 v[12:13], v[28:29], -v[16:17]
	v_add_f64 v[14:15], v[18:19], v[30:31]
	v_add_f64 v[16:17], v[16:17], v[28:29]
	v_add_f64 v[18:19], v[30:31], -v[18:19]
	v_add_f64 v[24:25], v[24:25], -v[34:35]
	v_add_f64 v[26:27], v[32:33], v[26:27]
	ds_write_b128 v89, v[0:3]
	ds_write_b128 v89, v[4:7] offset:1120
	ds_write_b128 v89, v[8:11] offset:2240
	;; [unrolled: 1-line block ×6, first 2 shown]
	s_waitcnt lgkmcnt(0)
	s_barrier
	s_and_b64 exec, exec, s[0:1]
	s_cbranch_execz .LBB0_15
; %bb.14:
	global_load_dwordx4 v[0:3], v110, s[14:15]
	global_load_dwordx4 v[4:7], v110, s[14:15] offset:784
	global_load_dwordx4 v[8:11], v110, s[14:15] offset:1568
	;; [unrolled: 1-line block ×4, first 2 shown]
	ds_read_b128 v[20:23], v89
	ds_read_b128 v[24:27], v89 offset:784
	global_load_dwordx4 v[28:31], v110, s[14:15] offset:3920
	v_mov_b32_e32 v40, s15
	v_mad_u64_u32 v[66:67], s[2:3], s4, v109, 0
	v_add_co_u32_e32 v41, vcc, s14, v110
	v_mad_u64_u32 v[64:65], s[0:1], s6, v88, 0
	s_mul_hi_u32 s6, s4, 0x310
	s_mul_i32 s2, s4, 0x310
	s_movk_i32 s4, 0x1000
	v_addc_co_u32_e32 v40, vcc, 0, v40, vcc
	v_add_co_u32_e32 v68, vcc, s4, v41
	v_addc_co_u32_e32 v69, vcc, 0, v40, vcc
	ds_read_b128 v[32:35], v89 offset:1568
	ds_read_b128 v[36:39], v89 offset:2352
	global_load_dwordx4 v[40:43], v[68:69], off offset:608
	ds_read_b128 v[44:47], v89 offset:3136
	ds_read_b128 v[48:51], v89 offset:3920
	global_load_dwordx4 v[52:55], v[68:69], off offset:1392
	s_mul_i32 s3, s5, 0x310
	v_mov_b32_e32 v56, v65
	v_mov_b32_e32 v57, v67
	s_add_i32 s3, s6, s3
	v_mad_u64_u32 v[70:71], s[6:7], s7, v88, v[56:57]
	v_mad_u64_u32 v[71:72], s[4:5], s5, v109, v[57:58]
	global_load_dwordx4 v[56:59], v[68:69], off offset:2176
	global_load_dwordx4 v[60:63], v[68:69], off offset:2960
	v_mov_b32_e32 v65, v70
	v_lshlrev_b64 v[64:65], 4, v[64:65]
	v_mov_b32_e32 v67, v71
	v_mov_b32_e32 v73, s13
	v_lshlrev_b64 v[66:67], 4, v[66:67]
	v_add_co_u32_e32 v64, vcc, s12, v64
	v_addc_co_u32_e32 v65, vcc, v73, v65, vcc
	v_add_co_u32_e32 v64, vcc, v64, v66
	v_addc_co_u32_e32 v65, vcc, v65, v67, vcc
	v_mov_b32_e32 v74, s3
	v_add_co_u32_e32 v66, vcc, s2, v64
	v_addc_co_u32_e32 v67, vcc, v65, v74, vcc
	v_mov_b32_e32 v75, s3
	;; [unrolled: 3-line block ×3, first 2 shown]
	v_add_co_u32_e32 v70, vcc, s2, v68
	v_addc_co_u32_e32 v71, vcc, v69, v76, vcc
	s_mov_b32 s0, 0xec259dc8
	s_mov_b32 s1, 0x3f60b7e6
	s_waitcnt vmcnt(9) lgkmcnt(5)
	v_mul_f64 v[72:73], v[22:23], v[2:3]
	v_mul_f64 v[2:3], v[20:21], v[2:3]
	s_waitcnt vmcnt(8) lgkmcnt(4)
	v_mul_f64 v[74:75], v[26:27], v[6:7]
	v_mul_f64 v[6:7], v[24:25], v[6:7]
	;; [unrolled: 3-line block ×4, first 2 shown]
	v_fma_f64 v[20:21], v[20:21], v[0:1], v[72:73]
	v_fma_f64 v[2:3], v[0:1], v[22:23], -v[2:3]
	v_fma_f64 v[22:23], v[24:25], v[4:5], v[74:75]
	v_fma_f64 v[6:7], v[4:5], v[26:27], -v[6:7]
	;; [unrolled: 2-line block ×4, first 2 shown]
	v_mul_f64 v[0:1], v[20:21], s[0:1]
	v_mul_f64 v[2:3], v[2:3], s[0:1]
	;; [unrolled: 1-line block ×6, first 2 shown]
	s_waitcnt vmcnt(5) lgkmcnt(1)
	v_mul_f64 v[80:81], v[46:47], v[18:19]
	v_mul_f64 v[18:19], v[44:45], v[18:19]
	;; [unrolled: 1-line block ×4, first 2 shown]
	s_waitcnt vmcnt(4) lgkmcnt(0)
	v_mul_f64 v[20:21], v[50:51], v[30:31]
	v_mul_f64 v[22:23], v[48:49], v[30:31]
	global_store_dwordx4 v[64:65], v[0:3], off
	global_store_dwordx4 v[66:67], v[4:7], off
	;; [unrolled: 1-line block ×4, first 2 shown]
	ds_read_b128 v[0:3], v89 offset:4704
	ds_read_b128 v[4:7], v89 offset:5488
	v_fma_f64 v[32:33], v[44:45], v[16:17], v[80:81]
	v_fma_f64 v[18:19], v[16:17], v[46:47], -v[18:19]
	v_fma_f64 v[8:9], v[48:49], v[28:29], v[20:21]
	v_fma_f64 v[10:11], v[28:29], v[50:51], -v[22:23]
	s_waitcnt vmcnt(7) lgkmcnt(1)
	v_mul_f64 v[12:13], v[2:3], v[42:43]
	v_mul_f64 v[14:15], v[0:1], v[42:43]
	v_mov_b32_e32 v24, s3
	v_add_co_u32_e32 v20, vcc, s2, v70
	v_mul_f64 v[16:17], v[32:33], s[0:1]
	v_mul_f64 v[18:19], v[18:19], s[0:1]
	;; [unrolled: 1-line block ×4, first 2 shown]
	v_fma_f64 v[0:1], v[0:1], v[40:41], v[12:13]
	v_fma_f64 v[2:3], v[40:41], v[2:3], -v[14:15]
	s_waitcnt vmcnt(6) lgkmcnt(0)
	v_mul_f64 v[12:13], v[6:7], v[54:55]
	v_mul_f64 v[14:15], v[4:5], v[54:55]
	v_addc_co_u32_e32 v21, vcc, v71, v24, vcc
	global_store_dwordx4 v[20:21], v[16:19], off
	v_mul_f64 v[0:1], v[0:1], s[0:1]
	v_mov_b32_e32 v17, s3
	v_add_co_u32_e32 v16, vcc, s2, v20
	v_addc_co_u32_e32 v17, vcc, v21, v17, vcc
	global_store_dwordx4 v[16:17], v[8:11], off
	v_fma_f64 v[12:13], v[4:5], v[52:53], v[12:13]
	v_fma_f64 v[14:15], v[52:53], v[6:7], -v[14:15]
	ds_read_b128 v[4:7], v89 offset:6272
	ds_read_b128 v[8:11], v89 offset:7056
	v_mov_b32_e32 v18, s3
	v_add_co_u32_e32 v16, vcc, s2, v16
	v_mul_f64 v[2:3], v[2:3], s[0:1]
	v_addc_co_u32_e32 v17, vcc, v17, v18, vcc
	s_waitcnt vmcnt(7) lgkmcnt(1)
	v_mul_f64 v[18:19], v[6:7], v[58:59]
	v_mul_f64 v[20:21], v[4:5], v[58:59]
	s_waitcnt vmcnt(6) lgkmcnt(0)
	v_mul_f64 v[22:23], v[10:11], v[62:63]
	v_mul_f64 v[24:25], v[8:9], v[62:63]
	global_store_dwordx4 v[16:17], v[0:3], off
	s_nop 0
	v_mul_f64 v[0:1], v[12:13], s[0:1]
	v_mul_f64 v[2:3], v[14:15], s[0:1]
	v_fma_f64 v[4:5], v[4:5], v[56:57], v[18:19]
	v_fma_f64 v[6:7], v[56:57], v[6:7], -v[20:21]
	v_fma_f64 v[8:9], v[8:9], v[60:61], v[22:23]
	v_fma_f64 v[10:11], v[60:61], v[10:11], -v[24:25]
	v_mov_b32_e32 v13, s3
	v_add_co_u32_e32 v12, vcc, s2, v16
	v_addc_co_u32_e32 v13, vcc, v17, v13, vcc
	global_store_dwordx4 v[12:13], v[0:3], off
	v_mov_b32_e32 v14, s3
	v_mul_f64 v[0:1], v[4:5], s[0:1]
	v_mul_f64 v[2:3], v[6:7], s[0:1]
	;; [unrolled: 1-line block ×4, first 2 shown]
	v_add_co_u32_e32 v8, vcc, s2, v12
	v_addc_co_u32_e32 v9, vcc, v13, v14, vcc
	global_store_dwordx4 v[8:9], v[0:3], off
	s_nop 0
	v_mov_b32_e32 v1, s3
	v_add_co_u32_e32 v0, vcc, s2, v8
	v_addc_co_u32_e32 v1, vcc, v9, v1, vcc
	global_store_dwordx4 v[0:1], v[4:7], off
.LBB0_15:
	s_endpgm
	.section	.rodata,"a",@progbits
	.p2align	6, 0x0
	.amdhsa_kernel bluestein_single_fwd_len490_dim1_dp_op_CI_CI
		.amdhsa_group_segment_fixed_size 23520
		.amdhsa_private_segment_fixed_size 0
		.amdhsa_kernarg_size 104
		.amdhsa_user_sgpr_count 6
		.amdhsa_user_sgpr_private_segment_buffer 1
		.amdhsa_user_sgpr_dispatch_ptr 0
		.amdhsa_user_sgpr_queue_ptr 0
		.amdhsa_user_sgpr_kernarg_segment_ptr 1
		.amdhsa_user_sgpr_dispatch_id 0
		.amdhsa_user_sgpr_flat_scratch_init 0
		.amdhsa_user_sgpr_private_segment_size 0
		.amdhsa_uses_dynamic_stack 0
		.amdhsa_system_sgpr_private_segment_wavefront_offset 0
		.amdhsa_system_sgpr_workgroup_id_x 1
		.amdhsa_system_sgpr_workgroup_id_y 0
		.amdhsa_system_sgpr_workgroup_id_z 0
		.amdhsa_system_sgpr_workgroup_info 0
		.amdhsa_system_vgpr_workitem_id 0
		.amdhsa_next_free_vgpr 197
		.amdhsa_next_free_sgpr 34
		.amdhsa_reserve_vcc 1
		.amdhsa_reserve_flat_scratch 0
		.amdhsa_float_round_mode_32 0
		.amdhsa_float_round_mode_16_64 0
		.amdhsa_float_denorm_mode_32 3
		.amdhsa_float_denorm_mode_16_64 3
		.amdhsa_dx10_clamp 1
		.amdhsa_ieee_mode 1
		.amdhsa_fp16_overflow 0
		.amdhsa_exception_fp_ieee_invalid_op 0
		.amdhsa_exception_fp_denorm_src 0
		.amdhsa_exception_fp_ieee_div_zero 0
		.amdhsa_exception_fp_ieee_overflow 0
		.amdhsa_exception_fp_ieee_underflow 0
		.amdhsa_exception_fp_ieee_inexact 0
		.amdhsa_exception_int_div_zero 0
	.end_amdhsa_kernel
	.text
.Lfunc_end0:
	.size	bluestein_single_fwd_len490_dim1_dp_op_CI_CI, .Lfunc_end0-bluestein_single_fwd_len490_dim1_dp_op_CI_CI
                                        ; -- End function
	.section	.AMDGPU.csdata,"",@progbits
; Kernel info:
; codeLenInByte = 10228
; NumSgprs: 38
; NumVgprs: 197
; ScratchSize: 0
; MemoryBound: 0
; FloatMode: 240
; IeeeMode: 1
; LDSByteSize: 23520 bytes/workgroup (compile time only)
; SGPRBlocks: 4
; VGPRBlocks: 49
; NumSGPRsForWavesPerEU: 38
; NumVGPRsForWavesPerEU: 197
; Occupancy: 1
; WaveLimiterHint : 1
; COMPUTE_PGM_RSRC2:SCRATCH_EN: 0
; COMPUTE_PGM_RSRC2:USER_SGPR: 6
; COMPUTE_PGM_RSRC2:TRAP_HANDLER: 0
; COMPUTE_PGM_RSRC2:TGID_X_EN: 1
; COMPUTE_PGM_RSRC2:TGID_Y_EN: 0
; COMPUTE_PGM_RSRC2:TGID_Z_EN: 0
; COMPUTE_PGM_RSRC2:TIDIG_COMP_CNT: 0
	.type	__hip_cuid_21863ae97a2ace98,@object ; @__hip_cuid_21863ae97a2ace98
	.section	.bss,"aw",@nobits
	.globl	__hip_cuid_21863ae97a2ace98
__hip_cuid_21863ae97a2ace98:
	.byte	0                               ; 0x0
	.size	__hip_cuid_21863ae97a2ace98, 1

	.ident	"AMD clang version 19.0.0git (https://github.com/RadeonOpenCompute/llvm-project roc-6.4.0 25133 c7fe45cf4b819c5991fe208aaa96edf142730f1d)"
	.section	".note.GNU-stack","",@progbits
	.addrsig
	.addrsig_sym __hip_cuid_21863ae97a2ace98
	.amdgpu_metadata
---
amdhsa.kernels:
  - .args:
      - .actual_access:  read_only
        .address_space:  global
        .offset:         0
        .size:           8
        .value_kind:     global_buffer
      - .actual_access:  read_only
        .address_space:  global
        .offset:         8
        .size:           8
        .value_kind:     global_buffer
      - .actual_access:  read_only
        .address_space:  global
        .offset:         16
        .size:           8
        .value_kind:     global_buffer
      - .actual_access:  read_only
        .address_space:  global
        .offset:         24
        .size:           8
        .value_kind:     global_buffer
      - .actual_access:  read_only
        .address_space:  global
        .offset:         32
        .size:           8
        .value_kind:     global_buffer
      - .offset:         40
        .size:           8
        .value_kind:     by_value
      - .address_space:  global
        .offset:         48
        .size:           8
        .value_kind:     global_buffer
      - .address_space:  global
        .offset:         56
        .size:           8
        .value_kind:     global_buffer
      - .address_space:  global
        .offset:         64
        .size:           8
        .value_kind:     global_buffer
      - .address_space:  global
        .offset:         72
        .size:           8
        .value_kind:     global_buffer
      - .offset:         80
        .size:           4
        .value_kind:     by_value
      - .address_space:  global
        .offset:         88
        .size:           8
        .value_kind:     global_buffer
      - .address_space:  global
        .offset:         96
        .size:           8
        .value_kind:     global_buffer
    .group_segment_fixed_size: 23520
    .kernarg_segment_align: 8
    .kernarg_segment_size: 104
    .language:       OpenCL C
    .language_version:
      - 2
      - 0
    .max_flat_workgroup_size: 210
    .name:           bluestein_single_fwd_len490_dim1_dp_op_CI_CI
    .private_segment_fixed_size: 0
    .sgpr_count:     38
    .sgpr_spill_count: 0
    .symbol:         bluestein_single_fwd_len490_dim1_dp_op_CI_CI.kd
    .uniform_work_group_size: 1
    .uses_dynamic_stack: false
    .vgpr_count:     197
    .vgpr_spill_count: 0
    .wavefront_size: 64
amdhsa.target:   amdgcn-amd-amdhsa--gfx906
amdhsa.version:
  - 1
  - 2
...

	.end_amdgpu_metadata
